;; amdgpu-corpus repo=ROCm/rocFFT kind=compiled arch=gfx950 opt=O3
	.text
	.amdgcn_target "amdgcn-amd-amdhsa--gfx950"
	.amdhsa_code_object_version 6
	.protected	fft_rtc_back_len13_factors_13_wgs_64_tpt_1_half_op_CI_CI_sbrr_dirReg ; -- Begin function fft_rtc_back_len13_factors_13_wgs_64_tpt_1_half_op_CI_CI_sbrr_dirReg
	.globl	fft_rtc_back_len13_factors_13_wgs_64_tpt_1_half_op_CI_CI_sbrr_dirReg
	.p2align	8
	.type	fft_rtc_back_len13_factors_13_wgs_64_tpt_1_half_op_CI_CI_sbrr_dirReg,@function
fft_rtc_back_len13_factors_13_wgs_64_tpt_1_half_op_CI_CI_sbrr_dirReg: ; @fft_rtc_back_len13_factors_13_wgs_64_tpt_1_half_op_CI_CI_sbrr_dirReg
; %bb.0:
	s_load_dwordx4 s[8:11], s[0:1], 0x18
	s_load_dwordx2 s[16:17], s[0:1], 0x8
	s_load_dwordx4 s[4:7], s[0:1], 0x58
	v_lshl_or_b32 v8, s2, 6, v0
	v_mov_b32_e32 v6, 0
	s_waitcnt lgkmcnt(0)
	s_load_dwordx2 s[14:15], s[8:9], 0x0
	s_load_dwordx2 s[12:13], s[10:11], 0x0
	v_cmp_lt_u64_e64 s[2:3], s[16:17], 2
	v_mov_b32_e32 v9, v6
	s_and_b64 vcc, exec, s[2:3]
	v_mov_b64_e32 v[4:5], 0
	s_cbranch_vccnz .LBB0_8
; %bb.1:
	s_load_dwordx2 s[2:3], s[0:1], 0x10
	s_add_u32 s18, s10, 8
	s_addc_u32 s19, s11, 0
	s_add_u32 s20, s8, 8
	s_addc_u32 s21, s9, 0
	s_waitcnt lgkmcnt(0)
	s_add_u32 s22, s2, 8
	v_mov_b64_e32 v[4:5], 0
	s_addc_u32 s23, s3, 0
	s_mov_b64 s[24:25], 1
	v_mov_b64_e32 v[0:1], v[4:5]
.LBB0_2:                                ; =>This Inner Loop Header: Depth=1
	s_load_dwordx2 s[26:27], s[22:23], 0x0
                                        ; implicit-def: $vgpr2_vgpr3
	s_waitcnt lgkmcnt(0)
	v_or_b32_e32 v7, s27, v9
	v_cmp_ne_u64_e32 vcc, 0, v[6:7]
	s_and_saveexec_b64 s[2:3], vcc
	s_xor_b64 s[28:29], exec, s[2:3]
	s_cbranch_execz .LBB0_4
; %bb.3:                                ;   in Loop: Header=BB0_2 Depth=1
	v_cvt_f32_u32_e32 v2, s26
	v_cvt_f32_u32_e32 v3, s27
	s_sub_u32 s2, 0, s26
	s_subb_u32 s3, 0, s27
	v_fmac_f32_e32 v2, 0x4f800000, v3
	v_rcp_f32_e32 v2, v2
	s_nop 0
	v_mul_f32_e32 v2, 0x5f7ffffc, v2
	v_mul_f32_e32 v3, 0x2f800000, v2
	v_trunc_f32_e32 v3, v3
	v_fmac_f32_e32 v2, 0xcf800000, v3
	v_cvt_u32_f32_e32 v7, v3
	v_cvt_u32_f32_e32 v12, v2
	v_mul_lo_u32 v2, s2, v7
	v_mul_hi_u32 v10, s2, v12
	v_mul_lo_u32 v3, s3, v12
	v_add_u32_e32 v10, v10, v2
	v_mul_lo_u32 v13, s2, v12
	v_add_u32_e32 v14, v10, v3
	v_mul_hi_u32 v2, v12, v13
	v_mul_hi_u32 v11, v12, v14
	v_mul_lo_u32 v10, v12, v14
	v_mov_b32_e32 v3, v6
	v_lshl_add_u64 v[2:3], v[2:3], 0, v[10:11]
	v_mul_hi_u32 v11, v7, v13
	v_mul_lo_u32 v13, v7, v13
	v_add_co_u32_e32 v2, vcc, v2, v13
	v_mul_hi_u32 v10, v7, v14
	s_nop 0
	v_addc_co_u32_e32 v2, vcc, v3, v11, vcc
	v_mov_b32_e32 v3, v6
	s_nop 0
	v_addc_co_u32_e32 v11, vcc, 0, v10, vcc
	v_mul_lo_u32 v10, v7, v14
	v_lshl_add_u64 v[2:3], v[2:3], 0, v[10:11]
	v_add_co_u32_e32 v12, vcc, v12, v2
	v_mul_lo_u32 v10, s2, v12
	s_nop 0
	v_addc_co_u32_e32 v7, vcc, v7, v3, vcc
	v_mul_lo_u32 v2, s2, v7
	v_mul_hi_u32 v3, s2, v12
	v_add_u32_e32 v2, v3, v2
	v_mul_lo_u32 v3, s3, v12
	v_add_u32_e32 v13, v2, v3
	v_mul_hi_u32 v15, v7, v10
	v_mul_lo_u32 v16, v7, v10
	v_mul_hi_u32 v3, v12, v13
	v_mul_lo_u32 v2, v12, v13
	v_mul_hi_u32 v10, v12, v10
	v_mov_b32_e32 v11, v6
	v_lshl_add_u64 v[2:3], v[10:11], 0, v[2:3]
	v_add_co_u32_e32 v2, vcc, v2, v16
	v_mul_hi_u32 v14, v7, v13
	s_nop 0
	v_addc_co_u32_e32 v2, vcc, v3, v15, vcc
	v_mul_lo_u32 v10, v7, v13
	s_nop 0
	v_addc_co_u32_e32 v11, vcc, 0, v14, vcc
	v_mov_b32_e32 v3, v6
	v_lshl_add_u64 v[2:3], v[2:3], 0, v[10:11]
	v_add_co_u32_e32 v12, vcc, v12, v2
	v_mul_hi_u32 v10, v8, v12
	s_nop 0
	v_addc_co_u32_e32 v7, vcc, v7, v3, vcc
	v_mad_u64_u32 v[2:3], s[2:3], v8, v7, 0
	v_mov_b32_e32 v11, v6
	v_lshl_add_u64 v[2:3], v[10:11], 0, v[2:3]
	v_mad_u64_u32 v[12:13], s[2:3], v9, v12, 0
	v_add_co_u32_e32 v2, vcc, v2, v12
	v_mad_u64_u32 v[10:11], s[2:3], v9, v7, 0
	s_nop 0
	v_addc_co_u32_e32 v2, vcc, v3, v13, vcc
	v_mov_b32_e32 v3, v6
	s_nop 0
	v_addc_co_u32_e32 v11, vcc, 0, v11, vcc
	v_lshl_add_u64 v[2:3], v[2:3], 0, v[10:11]
	v_mul_lo_u32 v7, s27, v2
	v_mul_lo_u32 v12, s26, v3
	v_mad_u64_u32 v[10:11], s[2:3], s26, v2, 0
	v_add3_u32 v7, v11, v12, v7
	v_sub_u32_e32 v11, v9, v7
	v_mov_b32_e32 v12, s27
	v_sub_co_u32_e32 v14, vcc, v8, v10
	s_nop 1
	v_subb_co_u32_e64 v10, s[2:3], v11, v12, vcc
	v_subrev_co_u32_e64 v11, s[2:3], s26, v14
	v_subb_co_u32_e32 v7, vcc, v9, v7, vcc
	s_nop 0
	v_subbrev_co_u32_e64 v10, s[2:3], 0, v10, s[2:3]
	v_cmp_le_u32_e64 s[2:3], s27, v10
	v_cmp_le_u32_e32 vcc, s27, v7
	s_nop 0
	v_cndmask_b32_e64 v12, 0, -1, s[2:3]
	v_cmp_le_u32_e64 s[2:3], s26, v11
	s_nop 1
	v_cndmask_b32_e64 v11, 0, -1, s[2:3]
	v_cmp_eq_u32_e64 s[2:3], s27, v10
	s_nop 1
	v_cndmask_b32_e64 v15, v12, v11, s[2:3]
	v_lshl_add_u64 v[10:11], v[2:3], 0, 2
	v_lshl_add_u64 v[12:13], v[2:3], 0, 1
	v_cmp_ne_u32_e64 s[2:3], 0, v15
	s_nop 1
	v_cndmask_b32_e64 v11, v13, v11, s[2:3]
	v_cndmask_b32_e64 v13, 0, -1, vcc
	v_cmp_le_u32_e32 vcc, s26, v14
	s_nop 1
	v_cndmask_b32_e64 v14, 0, -1, vcc
	v_cmp_eq_u32_e32 vcc, s27, v7
	s_nop 1
	v_cndmask_b32_e32 v7, v13, v14, vcc
	v_cmp_ne_u32_e32 vcc, 0, v7
	v_cndmask_b32_e64 v7, v12, v10, s[2:3]
	s_nop 0
	v_cndmask_b32_e32 v3, v3, v11, vcc
	v_cndmask_b32_e32 v2, v2, v7, vcc
.LBB0_4:                                ;   in Loop: Header=BB0_2 Depth=1
	s_andn2_saveexec_b64 s[2:3], s[28:29]
	s_cbranch_execz .LBB0_6
; %bb.5:                                ;   in Loop: Header=BB0_2 Depth=1
	v_cvt_f32_u32_e32 v2, s26
	s_sub_i32 s28, 0, s26
	v_rcp_iflag_f32_e32 v2, v2
	s_nop 0
	v_mul_f32_e32 v2, 0x4f7ffffe, v2
	v_cvt_u32_f32_e32 v2, v2
	v_mul_lo_u32 v3, s28, v2
	v_mul_hi_u32 v3, v2, v3
	v_add_u32_e32 v2, v2, v3
	v_mul_hi_u32 v2, v8, v2
	v_mul_lo_u32 v3, v2, s26
	v_sub_u32_e32 v3, v8, v3
	v_add_u32_e32 v7, 1, v2
	v_subrev_u32_e32 v10, s26, v3
	v_cmp_le_u32_e32 vcc, s26, v3
	s_nop 1
	v_cndmask_b32_e32 v3, v3, v10, vcc
	v_cndmask_b32_e32 v2, v2, v7, vcc
	v_add_u32_e32 v7, 1, v2
	v_cmp_le_u32_e32 vcc, s26, v3
	v_mov_b32_e32 v3, v6
	s_nop 0
	v_cndmask_b32_e32 v2, v2, v7, vcc
.LBB0_6:                                ;   in Loop: Header=BB0_2 Depth=1
	s_or_b64 exec, exec, s[2:3]
	v_mad_u64_u32 v[10:11], s[2:3], v2, s26, 0
	s_load_dwordx2 s[2:3], s[20:21], 0x0
	v_mul_lo_u32 v7, v3, s26
	v_mul_lo_u32 v12, v2, s27
	s_load_dwordx2 s[26:27], s[18:19], 0x0
	s_add_u32 s24, s24, 1
	v_add3_u32 v7, v11, v12, v7
	v_sub_co_u32_e32 v8, vcc, v8, v10
	s_addc_u32 s25, s25, 0
	s_nop 0
	v_subb_co_u32_e32 v7, vcc, v9, v7, vcc
	s_add_u32 s18, s18, 8
	s_waitcnt lgkmcnt(0)
	v_mul_lo_u32 v9, s2, v7
	v_mul_lo_u32 v10, s3, v8
	v_mad_u64_u32 v[4:5], s[2:3], s2, v8, v[4:5]
	s_addc_u32 s19, s19, 0
	v_add3_u32 v5, v10, v5, v9
	v_mul_lo_u32 v7, s26, v7
	v_mul_lo_u32 v9, s27, v8
	v_mad_u64_u32 v[0:1], s[2:3], s26, v8, v[0:1]
	s_add_u32 s20, s20, 8
	v_add3_u32 v1, v9, v1, v7
	s_addc_u32 s21, s21, 0
	v_mov_b64_e32 v[8:9], s[16:17]
	s_add_u32 s22, s22, 8
	v_cmp_ge_u64_e32 vcc, s[24:25], v[8:9]
	s_addc_u32 s23, s23, 0
	s_cbranch_vccnz .LBB0_9
; %bb.7:                                ;   in Loop: Header=BB0_2 Depth=1
	v_mov_b64_e32 v[8:9], v[2:3]
	s_branch .LBB0_2
.LBB0_8:
	v_mov_b64_e32 v[0:1], v[4:5]
	v_mov_b64_e32 v[2:3], v[8:9]
.LBB0_9:
	s_load_dwordx2 s[2:3], s[0:1], 0x28
	s_lshl_b64 s[16:17], s[16:17], 3
	s_add_u32 s0, s10, s16
	s_addc_u32 s1, s11, s17
                                        ; implicit-def: $vgpr18
                                        ; implicit-def: $vgpr6
                                        ; implicit-def: $vgpr19
                                        ; implicit-def: $vgpr7
                                        ; implicit-def: $vgpr21
                                        ; implicit-def: $vgpr10
                                        ; implicit-def: $vgpr20
                                        ; implicit-def: $vgpr8
                                        ; implicit-def: $vgpr23
                                        ; implicit-def: $vgpr11
                                        ; implicit-def: $vgpr24
                                        ; implicit-def: $vgpr12
                                        ; implicit-def: $vgpr25
                                        ; implicit-def: $vgpr15
                                        ; implicit-def: $vgpr26
                                        ; implicit-def: $vgpr16
                                        ; implicit-def: $vgpr27
                                        ; implicit-def: $vgpr17
                                        ; implicit-def: $vgpr29
                                        ; implicit-def: $vgpr13
                                        ; implicit-def: $vgpr28
                                        ; implicit-def: $vgpr9
                                        ; implicit-def: $vgpr30
                                        ; implicit-def: $vgpr14
                                        ; implicit-def: $vgpr22
	s_waitcnt lgkmcnt(0)
	v_cmp_gt_u64_e32 vcc, s[2:3], v[2:3]
	s_and_saveexec_b64 s[2:3], vcc
	s_cbranch_execnz .LBB0_12
; %bb.10:
	s_or_b64 exec, exec, s[2:3]
	s_and_saveexec_b64 s[2:3], vcc
	s_cbranch_execnz .LBB0_13
.LBB0_11:
	s_endpgm
.LBB0_12:
	s_add_u32 s8, s8, s16
	s_addc_u32 s9, s9, s17
	s_load_dwordx2 s[8:9], s[8:9], 0x0
	s_waitcnt lgkmcnt(0)
	v_mul_lo_u32 v8, s9, v2
	v_mul_lo_u32 v9, s8, v3
	v_mad_u64_u32 v[6:7], s[8:9], s8, v2, 0
	v_add3_u32 v7, v7, v9, v8
	v_lshl_add_u64 v[6:7], v[6:7], 2, s[4:5]
	v_lshl_add_u64 v[4:5], v[4:5], 2, v[6:7]
	v_mad_u64_u32 v[16:17], s[4:5], s14, 12, v[4:5]
	v_mov_b32_e32 v6, v17
	v_mad_u64_u32 v[6:7], s[4:5], s15, 12, v[6:7]
	v_mad_u64_u32 v[18:19], s[4:5], s14, 20, v[4:5]
	v_mov_b32_e32 v17, v6
	v_mov_b32_e32 v6, v19
	v_mad_u64_u32 v[6:7], s[4:5], s15, 20, v[6:7]
	v_mad_u64_u32 v[20:21], s[4:5], s14, 24, v[4:5]
	v_mov_b32_e32 v19, v6
	;; [unrolled: 4-line block ×3, first 2 shown]
	v_mov_b32_e32 v6, v23
	v_mad_u64_u32 v[6:7], s[4:5], s15, 28, v[6:7]
	s_lshl_b64 s[4:5], s[14:15], 5
	v_lshl_add_u64 v[10:11], s[14:15], 2, v[4:5]
	v_lshl_add_u64 v[24:25], v[4:5], 0, s[4:5]
	;; [unrolled: 1-line block ×4, first 2 shown]
	v_mov_b32_e32 v23, v6
	global_load_dword v6, v[10:11], off
	global_load_dword v7, v[12:13], off
	;; [unrolled: 1-line block ×4, first 2 shown]
	v_mad_u64_u32 v[24:25], s[4:5], s14, 36, v[4:5]
	v_mov_b32_e32 v10, v25
	v_mad_u64_u32 v[10:11], s[4:5], s15, 36, v[10:11]
	v_mov_b32_e32 v25, v10
	global_load_dword v10, v[16:17], off
	global_load_dword v11, v[18:19], off
	global_load_dword v12, v[20:21], off
	global_load_dword v14, v[22:23], off
	global_load_dword v13, v[24:25], off
	v_mad_u64_u32 v[18:19], s[4:5], s14, 40, v[4:5]
	v_mov_b32_e32 v16, v19
	v_mad_u64_u32 v[16:17], s[4:5], s15, 40, v[16:17]
	v_mad_u64_u32 v[20:21], s[4:5], s14, 44, v[4:5]
	v_mov_b32_e32 v19, v16
	v_mov_b32_e32 v16, v21
	v_mad_u64_u32 v[16:17], s[4:5], s15, 44, v[16:17]
	v_mad_u64_u32 v[24:25], s[4:5], s14, 48, v[4:5]
	v_mov_b32_e32 v21, v16
	v_mov_b32_e32 v16, v25
	v_mad_u64_u32 v[16:17], s[4:5], s15, 48, v[16:17]
	v_mov_b32_e32 v25, v16
	global_load_dword v17, v[18:19], off
	global_load_dword v16, v[20:21], off
	;; [unrolled: 1-line block ×4, first 2 shown]
	s_waitcnt vmcnt(12)
	v_lshrrev_b32_e32 v18, 16, v6
	s_waitcnt vmcnt(11)
	v_lshrrev_b32_e32 v19, 16, v7
	;; [unrolled: 2-line block ×12, first 2 shown]
	s_or_b64 exec, exec, s[2:3]
	s_and_saveexec_b64 s[2:3], vcc
	s_cbranch_execz .LBB0_11
.LBB0_13:
	s_load_dwordx2 s[0:1], s[0:1], 0x0
	v_add_f16_e32 v4, v18, v25
	v_sub_f16_e32 v34, v7, v16
	v_add_f16_e32 v33, v19, v26
	v_mul_f16_e32 v35, 0x3770, v34
	s_waitcnt lgkmcnt(0)
	v_mul_lo_u32 v5, s1, v2
	v_mul_lo_u32 v31, s0, v3
	v_mad_u64_u32 v[2:3], s[0:1], s0, v2, 0
	v_add3_u32 v3, v3, v31, v5
	v_sub_f16_e32 v5, v6, v15
	v_mul_f16_e32 v31, 0xb3a8, v5
	s_mov_b32 s0, 0xbbc4
	v_fma_f16 v32, v4, s0, -v31
	s_movk_i32 s2, 0x3b15
	s_waitcnt vmcnt(0)
	v_add_f16_sdwa v32, v32, v22 dst_sel:DWORD dst_unused:UNUSED_PAD src0_sel:DWORD src1_sel:WORD_1
	v_fma_f16 v36, v33, s2, -v35
	v_sub_f16_e32 v37, v10, v17
	v_add_f16_e32 v32, v36, v32
	v_add_f16_e32 v36, v21, v27
	v_mul_f16_e32 v38, 0xb94e, v37
	s_mov_b32 s1, 0xb9fd
	v_fma_f16 v39, v36, s1, -v38
	v_sub_f16_e32 v40, v8, v13
	v_add_f16_e32 v32, v39, v32
	v_add_f16_e32 v39, v20, v29
	v_mul_f16_e32 v41, 0x3a95, v40
	s_movk_i32 s3, 0x388b
	v_fma_f16 v42, v39, s3, -v41
	v_sub_f16_e32 v43, v11, v9
	v_add_f16_e32 v32, v42, v32
	v_add_f16_e32 v42, v23, v28
	v_mul_f16_e32 v44, 0xbb7b, v43
	s_mov_b32 s4, 0xb5ac
	v_fma_f16 v45, v42, s4, -v44
	v_sub_f16_e32 v46, v12, v14
	v_add_f16_e32 v32, v45, v32
	v_add_f16_e32 v45, v24, v30
	v_mul_f16_e32 v47, 0x3bf1, v46
	s_movk_i32 s5, 0x2fb7
	v_fma_f16 v48, v45, s5, -v47
	v_sub_f16_e32 v49, v18, v25
	v_add_f16_e32 v32, v48, v32
	v_add_f16_e32 v48, v6, v15
	v_mul_f16_e32 v50, 0xb3a8, v49
	v_sub_f16_e32 v53, v19, v26
	v_fma_f16 v51, v48, s0, v50
	v_add_f16_e32 v52, v7, v16
	v_mul_f16_e32 v54, 0x3770, v53
	v_add_f16_e32 v51, v51, v22
	v_fma_f16 v55, v52, s2, v54
	v_sub_f16_e32 v56, v21, v27
	v_add_f16_e32 v51, v55, v51
	v_add_f16_e32 v55, v10, v17
	v_mul_f16_e32 v57, 0xb94e, v56
	v_fma_f16 v58, v55, s1, v57
	v_sub_f16_e32 v59, v20, v29
	v_add_f16_e32 v51, v58, v51
	v_add_f16_e32 v58, v8, v13
	v_mul_f16_e32 v60, 0x3a95, v59
	;; [unrolled: 5-line block ×4, first 2 shown]
	v_fma_f16 v67, v64, s5, v66
	v_add_f16_e32 v51, v67, v51
	v_mul_f16_e32 v67, 0xb94e, v5
	v_fma_f16 v68, v4, s1, -v67
	v_mul_f16_e32 v69, 0x3bf1, v34
	v_add_f16_sdwa v68, v68, v22 dst_sel:DWORD dst_unused:UNUSED_PAD src0_sel:DWORD src1_sel:WORD_1
	v_fma_f16 v70, v33, s5, -v69
	v_add_f16_e32 v68, v70, v68
	v_mul_f16_e32 v70, 0xba95, v37
	v_fma_f16 v71, v36, s3, -v70
	v_add_f16_e32 v68, v71, v68
	v_mul_f16_e32 v71, 0x33a8, v40
	;; [unrolled: 3-line block ×5, first 2 shown]
	v_fma_f16 v75, v48, s1, v74
	v_mul_f16_e32 v76, 0x3bf1, v53
	v_add_f16_e32 v75, v75, v22
	v_fma_f16 v77, v52, s5, v76
	v_add_f16_e32 v75, v77, v75
	v_mul_f16_e32 v77, 0xba95, v56
	v_fma_f16 v78, v55, s3, v77
	v_add_f16_e32 v75, v78, v75
	v_mul_f16_e32 v78, 0x33a8, v59
	;; [unrolled: 3-line block ×5, first 2 shown]
	v_fma_f16 v82, v4, s4, -v81
	v_mul_f16_e32 v83, 0x394e, v34
	v_add_f16_sdwa v82, v82, v22 dst_sel:DWORD dst_unused:UNUSED_PAD src0_sel:DWORD src1_sel:WORD_1
	v_fma_f16 v84, v33, s1, -v83
	v_add_f16_e32 v82, v84, v82
	v_mul_f16_e32 v84, 0x3770, v37
	v_fma_f16 v85, v36, s2, -v84
	v_add_f16_e32 v82, v85, v82
	v_mul_f16_e32 v85, 0xbbf1, v40
	;; [unrolled: 3-line block ×5, first 2 shown]
	v_fma_f16 v89, v48, s4, v88
	v_mul_f16_e32 v90, 0x394e, v53
	v_add_f16_e32 v89, v89, v22
	v_fma_f16 v91, v52, s1, v90
	v_add_f16_e32 v89, v91, v89
	v_mul_f16_e32 v91, 0x3770, v56
	v_fma_f16 v92, v55, s2, v91
	v_add_f16_e32 v89, v92, v89
	v_mul_f16_e32 v92, 0xbbf1, v59
	;; [unrolled: 3-line block ×3, first 2 shown]
	v_fma_f16 v31, v4, s0, v31
	v_fma_f16 v94, v61, s0, v93
	v_add_f16_sdwa v31, v31, v22 dst_sel:DWORD dst_unused:UNUSED_PAD src0_sel:DWORD src1_sel:WORD_1
	v_fma_f16 v35, v33, s2, v35
	v_add_f16_e32 v89, v94, v89
	v_mul_f16_e32 v94, 0x3a95, v65
	v_add_f16_e32 v31, v35, v31
	v_fma_f16 v35, v36, s1, v38
	v_fma_f16 v95, v64, s3, v94
	v_add_f16_e32 v31, v35, v31
	v_fma_f16 v35, v39, s3, v41
	v_add_f16_e32 v89, v95, v89
	v_mul_f16_e32 v95, 0xbbf1, v5
	v_add_f16_e32 v31, v35, v31
	v_fma_f16 v35, v42, s4, v44
	v_fma_f16 v96, v4, s5, -v95
	v_mul_f16_e32 v97, 0xb3a8, v34
	v_add_f16_e32 v31, v35, v31
	v_fma_f16 v35, v45, s5, v47
	v_add_f16_sdwa v96, v96, v22 dst_sel:DWORD dst_unused:UNUSED_PAD src0_sel:DWORD src1_sel:WORD_1
	v_fma_f16 v98, v33, s0, -v97
	v_add_f16_e32 v31, v35, v31
	v_fma_f16 v35, v48, s0, -v50
	v_add_f16_e32 v96, v98, v96
	v_mul_f16_e32 v98, 0x3b7b, v37
	v_add_f16_e32 v35, v35, v22
	v_fma_f16 v38, v52, s2, -v54
	v_fma_f16 v99, v36, s4, -v98
	v_add_f16_e32 v35, v38, v35
	v_fma_f16 v38, v55, s1, -v57
	v_add_f16_e32 v96, v99, v96
	v_mul_f16_e32 v99, 0x3770, v40
	v_add_f16_e32 v35, v38, v35
	v_fma_f16 v38, v58, s3, -v60
	;; [unrolled: 7-line block ×3, first 2 shown]
	v_fma_f16 v101, v42, s3, -v100
	v_add_f16_e32 v35, v38, v35
	v_fma_f16 v38, v4, s1, v67
	v_add_f16_e32 v96, v101, v96
	v_mul_f16_e32 v101, 0xb94e, v46
	v_add_f16_sdwa v38, v38, v22 dst_sel:DWORD dst_unused:UNUSED_PAD src0_sel:DWORD src1_sel:WORD_1
	v_fma_f16 v41, v33, s5, v69
	v_fma_f16 v102, v45, s1, -v101
	v_add_f16_e32 v38, v41, v38
	v_fma_f16 v41, v36, s3, v70
	v_add_f16_e32 v96, v102, v96
	v_mul_f16_e32 v102, 0xbbf1, v49
	v_add_f16_e32 v38, v41, v38
	v_fma_f16 v41, v39, s0, v71
	v_fma_f16 v103, v48, s5, v102
	v_mul_f16_e32 v104, 0xb3a8, v53
	v_add_f16_e32 v38, v41, v38
	v_fma_f16 v41, v42, s2, v72
	v_add_f16_e32 v103, v103, v22
	v_fma_f16 v105, v52, s0, v104
	;; [unrolled: 2-line block ×3, first 2 shown]
	v_add_f16_e32 v103, v105, v103
	v_mul_f16_e32 v105, 0x3b7b, v56
	v_add_f16_e32 v38, v41, v38
	v_fma_f16 v41, v48, s1, -v74
	v_fma_f16 v106, v55, s4, v105
	v_add_f16_e32 v41, v41, v22
	v_fma_f16 v44, v52, s5, -v76
	v_add_f16_e32 v103, v106, v103
	v_mul_f16_e32 v106, 0x3770, v59
	v_add_f16_e32 v41, v44, v41
	v_fma_f16 v44, v55, s3, -v77
	v_fma_f16 v107, v58, s2, v106
	v_add_f16_e32 v41, v44, v41
	v_fma_f16 v44, v58, s0, -v78
	;; [unrolled: 7-line block ×3, first 2 shown]
	v_add_f16_e32 v103, v108, v103
	v_mul_f16_e32 v108, 0xb94e, v65
	v_add_f16_e32 v41, v44, v41
	v_fma_f16 v44, v4, s4, v81
	v_fma_f16 v109, v64, s1, v108
	v_add_f16_sdwa v44, v44, v22 dst_sel:DWORD dst_unused:UNUSED_PAD src0_sel:DWORD src1_sel:WORD_1
	v_fma_f16 v47, v33, s1, v83
	v_add_f16_e32 v103, v109, v103
	v_mul_f16_e32 v109, 0xba95, v5
	v_add_f16_e32 v44, v47, v44
	v_fma_f16 v47, v36, s2, v84
	v_fma_f16 v110, v4, s3, -v109
	v_mul_f16_e32 v111, 0xbb7b, v34
	v_add_f16_e32 v44, v47, v44
	v_fma_f16 v47, v39, s5, v85
	v_add_f16_sdwa v110, v110, v22 dst_sel:DWORD dst_unused:UNUSED_PAD src0_sel:DWORD src1_sel:WORD_1
	v_fma_f16 v112, v33, s4, -v111
	v_add_f16_e32 v44, v47, v44
	v_fma_f16 v47, v42, s0, v86
	v_add_f16_e32 v110, v112, v110
	v_mul_f16_e32 v112, 0xb3a8, v37
	v_add_f16_e32 v44, v47, v44
	v_fma_f16 v47, v45, s3, v87
	v_fma_f16 v113, v36, s0, -v112
	v_add_f16_e32 v44, v47, v44
	v_fma_f16 v47, v48, s4, -v88
	v_add_f16_e32 v110, v113, v110
	v_mul_f16_e32 v113, 0x394e, v40
	v_add_f16_e32 v47, v47, v22
	v_fma_f16 v50, v52, s1, -v90
	v_fma_f16 v114, v39, s1, -v113
	v_add_f16_e32 v47, v50, v47
	v_fma_f16 v50, v55, s2, -v91
	v_add_f16_e32 v110, v114, v110
	v_mul_f16_e32 v114, 0x3bf1, v43
	v_add_f16_e32 v47, v50, v47
	v_fma_f16 v50, v58, s5, -v92
	;; [unrolled: 7-line block ×3, first 2 shown]
	v_fma_f16 v116, v45, s2, -v115
	v_add_f16_e32 v47, v50, v47
	v_fma_f16 v50, v4, s5, v95
	v_add_f16_e32 v110, v116, v110
	v_mul_f16_e32 v116, 0xba95, v49
	v_add_f16_sdwa v50, v50, v22 dst_sel:DWORD dst_unused:UNUSED_PAD src0_sel:DWORD src1_sel:WORD_1
	v_fma_f16 v54, v33, s0, v97
	v_fma_f16 v117, v48, s3, v116
	v_mul_f16_e32 v118, 0xbb7b, v53
	v_add_f16_e32 v50, v54, v50
	v_fma_f16 v54, v36, s4, v98
	v_add_f16_e32 v117, v117, v22
	v_fma_f16 v119, v52, s4, v118
	v_add_f16_e32 v50, v54, v50
	v_fma_f16 v54, v39, s2, v99
	v_add_f16_e32 v117, v119, v117
	v_mul_f16_e32 v119, 0xb3a8, v56
	v_add_f16_e32 v50, v54, v50
	v_fma_f16 v54, v42, s3, v100
	v_fma_f16 v120, v55, s0, v119
	v_add_f16_e32 v50, v54, v50
	v_fma_f16 v54, v45, s1, v101
	v_add_f16_e32 v117, v120, v117
	v_mul_f16_e32 v120, 0x394e, v59
	v_add_f16_e32 v50, v54, v50
	v_fma_f16 v54, v48, s5, -v102
	v_fma_f16 v121, v58, s1, v120
	v_add_f16_e32 v54, v54, v22
	v_fma_f16 v57, v52, s0, -v104
	v_add_f16_e32 v117, v121, v117
	v_mul_f16_e32 v121, 0x3bf1, v62
	v_add_f16_e32 v54, v57, v54
	v_fma_f16 v57, v55, s4, -v105
	v_fma_f16 v122, v61, s5, v121
	v_add_f16_e32 v54, v57, v54
	v_fma_f16 v57, v58, s2, -v106
	v_add_f16_e32 v117, v122, v117
	v_mul_f16_e32 v122, 0x3770, v65
	v_add_f16_e32 v54, v57, v54
	v_fma_f16 v57, v61, s3, -v107
	v_fma_f16 v123, v64, s2, v122
	v_mul_f16_e32 v5, 0xb770, v5
	v_add_f16_e32 v54, v57, v54
	v_fma_f16 v57, v64, s1, -v108
	v_add_f16_e32 v117, v123, v117
	v_fma_f16 v123, v4, s2, -v5
	v_mul_f16_e32 v34, 0xba95, v34
	v_add_f16_e32 v54, v57, v54
	v_fma_f16 v57, v4, s3, v109
	v_fma_f16 v4, v4, s2, v5
	v_mul_f16_e32 v37, 0xbbf1, v37
	v_fma_f16 v5, v33, s3, v34
	v_add_f16_sdwa v4, v4, v22 dst_sel:DWORD dst_unused:UNUSED_PAD src0_sel:DWORD src1_sel:WORD_1
	v_mul_f16_e32 v40, 0xbb7b, v40
	v_add_f16_e32 v4, v5, v4
	v_fma_f16 v5, v36, s5, v37
	v_mul_f16_e32 v43, 0xb94e, v43
	v_add_f16_e32 v4, v5, v4
	v_fma_f16 v5, v39, s4, v40
	;; [unrolled: 3-line block ×4, first 2 shown]
	v_fma_f16 v124, v33, s3, -v34
	v_mul_f16_e32 v53, 0xba95, v53
	v_fma_f16 v60, v33, s4, v111
	v_add_f16_e32 v33, v5, v4
	v_fma_f16 v4, v48, s2, -v49
	v_mul_f16_e32 v56, 0xbbf1, v56
	v_fma_f16 v5, v52, s3, -v53
	v_add_f16_e32 v4, v4, v22
	v_mul_f16_e32 v59, 0xbb7b, v59
	v_add_f16_e32 v4, v5, v4
	v_fma_f16 v5, v55, s5, -v56
	v_mul_f16_e32 v62, 0xb94e, v62
	v_add_f16_e32 v4, v5, v4
	v_fma_f16 v5, v58, s4, -v59
	;; [unrolled: 3-line block ×3, first 2 shown]
	v_add_f16_e32 v4, v5, v4
	v_fma_f16 v5, v64, s0, -v65
	v_add_f16_e32 v34, v5, v4
	v_add_f16_sdwa v4, v18, v22 dst_sel:DWORD dst_unused:UNUSED_PAD src0_sel:DWORD src1_sel:WORD_1
	v_add_f16_e32 v5, v6, v22
	v_add_f16_sdwa v123, v123, v22 dst_sel:DWORD dst_unused:UNUSED_PAD src0_sel:DWORD src1_sel:WORD_1
	v_add_f16_e32 v4, v19, v4
	v_add_f16_e32 v5, v7, v5
	v_add_f16_e32 v123, v124, v123
	v_fma_f16 v124, v36, s5, -v37
	v_add_f16_e32 v4, v21, v4
	v_add_f16_e32 v5, v10, v5
	v_add_f16_e32 v123, v124, v123
	v_fma_f16 v124, v39, s4, -v40
	;; [unrolled: 4-line block ×4, first 2 shown]
	v_add_f16_e32 v4, v24, v4
	v_add_f16_e32 v5, v12, v5
	;; [unrolled: 1-line block ×3, first 2 shown]
	v_fma_f16 v124, v48, s2, v49
	v_add_f16_e32 v4, v30, v4
	v_add_f16_e32 v5, v14, v5
	;; [unrolled: 1-line block ×3, first 2 shown]
	v_fma_f16 v125, v52, s3, v53
	v_add_f16_sdwa v57, v57, v22 dst_sel:DWORD dst_unused:UNUSED_PAD src0_sel:DWORD src1_sel:WORD_1
	v_add_f16_e32 v4, v28, v4
	v_add_f16_e32 v5, v9, v5
	v_add_f16_e32 v124, v125, v124
	v_fma_f16 v125, v55, s5, v56
	v_add_f16_e32 v57, v60, v57
	v_fma_f16 v60, v36, s0, v112
	v_add_f16_e32 v4, v29, v4
	v_add_f16_e32 v5, v13, v5
	v_add_f16_e32 v124, v125, v124
	v_fma_f16 v125, v58, s4, v59
	v_add_f16_e32 v57, v60, v57
	v_fma_f16 v60, v39, s1, v113
	;; [unrolled: 6-line block ×4, first 2 shown]
	v_add_f16_sdwa v4, v25, v4 dst_sel:WORD_1 dst_unused:UNUSED_PAD src0_sel:DWORD src1_sel:DWORD
	v_add_f16_e32 v5, v15, v5
	v_lshl_add_u64 v[2:3], v[2:3], 2, s[6:7]
	v_add_f16_e32 v124, v125, v124
	v_add_f16_e32 v57, v60, v57
	v_fma_f16 v60, v48, s3, -v116
	v_or_b32_e32 v4, v4, v5
	v_lshl_add_u64 v[0:1], v[0:1], 2, v[2:3]
	v_add_f16_e32 v60, v60, v22
	v_fma_f16 v63, v52, s4, -v118
	global_store_dword v[0:1], v4, off
	v_lshl_add_u64 v[2:3], s[12:13], 2, v[0:1]
	v_pack_b32_f16 v4, v124, v123
	v_add_f16_e32 v60, v63, v60
	v_fma_f16 v63, v55, s0, -v119
	global_store_dword v[2:3], v4, off
	v_lshl_add_u64 v[2:3], s[12:13], 3, v[0:1]
	v_pack_b32_f16 v4, v117, v110
	v_add_f16_e32 v60, v63, v60
	v_fma_f16 v63, v58, s1, -v120
	global_store_dword v[2:3], v4, off
	v_mad_u64_u32 v[2:3], s[0:1], s12, 12, v[0:1]
	v_mov_b32_e32 v4, v3
	v_mad_u64_u32 v[4:5], s[0:1], s13, 12, v[4:5]
	v_mov_b32_e32 v3, v4
	v_pack_b32_f16 v4, v103, v96
	global_store_dword v[2:3], v4, off
	v_lshl_add_u64 v[2:3], s[12:13], 4, v[0:1]
	v_pack_b32_f16 v4, v89, v82
	global_store_dword v[2:3], v4, off
	v_mad_u64_u32 v[2:3], s[0:1], s12, 20, v[0:1]
	v_mov_b32_e32 v4, v3
	v_mad_u64_u32 v[4:5], s[0:1], s13, 20, v[4:5]
	v_mov_b32_e32 v3, v4
	v_pack_b32_f16 v4, v75, v68
	global_store_dword v[2:3], v4, off
	v_mad_u64_u32 v[2:3], s[0:1], s12, 24, v[0:1]
	v_mov_b32_e32 v4, v3
	v_mad_u64_u32 v[4:5], s[0:1], s13, 24, v[4:5]
	v_mov_b32_e32 v3, v4
	;; [unrolled: 6-line block ×3, first 2 shown]
	v_pack_b32_f16 v4, v35, v31
	s_lshl_b64 s[0:1], s[12:13], 5
	global_store_dword v[2:3], v4, off
	v_lshl_add_u64 v[2:3], v[0:1], 0, s[0:1]
	v_pack_b32_f16 v4, v41, v38
	global_store_dword v[2:3], v4, off
	v_mad_u64_u32 v[2:3], s[0:1], s12, 36, v[0:1]
	v_mov_b32_e32 v4, v3
	v_mad_u64_u32 v[4:5], s[0:1], s13, 36, v[4:5]
	v_mov_b32_e32 v3, v4
	v_pack_b32_f16 v4, v47, v44
	global_store_dword v[2:3], v4, off
	v_mad_u64_u32 v[2:3], s[0:1], s12, 40, v[0:1]
	v_mov_b32_e32 v4, v3
	v_mad_u64_u32 v[4:5], s[0:1], s13, 40, v[4:5]
	v_mov_b32_e32 v3, v4
	v_pack_b32_f16 v4, v54, v50
	v_add_f16_e32 v60, v63, v60
	v_fma_f16 v63, v61, s5, -v121
	global_store_dword v[2:3], v4, off
	v_mad_u64_u32 v[2:3], s[0:1], s12, 44, v[0:1]
	v_add_f16_e32 v60, v63, v60
	v_fma_f16 v63, v64, s2, -v122
	v_mov_b32_e32 v4, v3
	v_add_f16_e32 v60, v63, v60
	v_mad_u64_u32 v[4:5], s[0:1], s13, 44, v[4:5]
	v_mov_b32_e32 v3, v4
	v_pack_b32_f16 v4, v60, v57
	v_mad_u64_u32 v[0:1], s[0:1], s12, 48, v[0:1]
	global_store_dword v[2:3], v4, off
	v_mov_b32_e32 v2, v1
	v_mad_u64_u32 v[2:3], s[0:1], s13, 48, v[2:3]
	v_mov_b32_e32 v1, v2
	v_pack_b32_f16 v2, v34, v33
	global_store_dword v[0:1], v2, off
	s_endpgm
	.section	.rodata,"a",@progbits
	.p2align	6, 0x0
	.amdhsa_kernel fft_rtc_back_len13_factors_13_wgs_64_tpt_1_half_op_CI_CI_sbrr_dirReg
		.amdhsa_group_segment_fixed_size 0
		.amdhsa_private_segment_fixed_size 0
		.amdhsa_kernarg_size 104
		.amdhsa_user_sgpr_count 2
		.amdhsa_user_sgpr_dispatch_ptr 0
		.amdhsa_user_sgpr_queue_ptr 0
		.amdhsa_user_sgpr_kernarg_segment_ptr 1
		.amdhsa_user_sgpr_dispatch_id 0
		.amdhsa_user_sgpr_kernarg_preload_length 0
		.amdhsa_user_sgpr_kernarg_preload_offset 0
		.amdhsa_user_sgpr_private_segment_size 0
		.amdhsa_uses_dynamic_stack 0
		.amdhsa_enable_private_segment 0
		.amdhsa_system_sgpr_workgroup_id_x 1
		.amdhsa_system_sgpr_workgroup_id_y 0
		.amdhsa_system_sgpr_workgroup_id_z 0
		.amdhsa_system_sgpr_workgroup_info 0
		.amdhsa_system_vgpr_workitem_id 0
		.amdhsa_next_free_vgpr 126
		.amdhsa_next_free_sgpr 30
		.amdhsa_accum_offset 128
		.amdhsa_reserve_vcc 1
		.amdhsa_float_round_mode_32 0
		.amdhsa_float_round_mode_16_64 0
		.amdhsa_float_denorm_mode_32 3
		.amdhsa_float_denorm_mode_16_64 3
		.amdhsa_dx10_clamp 1
		.amdhsa_ieee_mode 1
		.amdhsa_fp16_overflow 0
		.amdhsa_tg_split 0
		.amdhsa_exception_fp_ieee_invalid_op 0
		.amdhsa_exception_fp_denorm_src 0
		.amdhsa_exception_fp_ieee_div_zero 0
		.amdhsa_exception_fp_ieee_overflow 0
		.amdhsa_exception_fp_ieee_underflow 0
		.amdhsa_exception_fp_ieee_inexact 0
		.amdhsa_exception_int_div_zero 0
	.end_amdhsa_kernel
	.text
.Lfunc_end0:
	.size	fft_rtc_back_len13_factors_13_wgs_64_tpt_1_half_op_CI_CI_sbrr_dirReg, .Lfunc_end0-fft_rtc_back_len13_factors_13_wgs_64_tpt_1_half_op_CI_CI_sbrr_dirReg
                                        ; -- End function
	.section	.AMDGPU.csdata,"",@progbits
; Kernel info:
; codeLenInByte = 4808
; NumSgprs: 36
; NumVgprs: 126
; NumAgprs: 0
; TotalNumVgprs: 126
; ScratchSize: 0
; MemoryBound: 0
; FloatMode: 240
; IeeeMode: 1
; LDSByteSize: 0 bytes/workgroup (compile time only)
; SGPRBlocks: 4
; VGPRBlocks: 15
; NumSGPRsForWavesPerEU: 36
; NumVGPRsForWavesPerEU: 126
; AccumOffset: 128
; Occupancy: 4
; WaveLimiterHint : 1
; COMPUTE_PGM_RSRC2:SCRATCH_EN: 0
; COMPUTE_PGM_RSRC2:USER_SGPR: 2
; COMPUTE_PGM_RSRC2:TRAP_HANDLER: 0
; COMPUTE_PGM_RSRC2:TGID_X_EN: 1
; COMPUTE_PGM_RSRC2:TGID_Y_EN: 0
; COMPUTE_PGM_RSRC2:TGID_Z_EN: 0
; COMPUTE_PGM_RSRC2:TIDIG_COMP_CNT: 0
; COMPUTE_PGM_RSRC3_GFX90A:ACCUM_OFFSET: 31
; COMPUTE_PGM_RSRC3_GFX90A:TG_SPLIT: 0
	.text
	.p2alignl 6, 3212836864
	.fill 256, 4, 3212836864
	.type	__hip_cuid_8605d181d5b12d2e,@object ; @__hip_cuid_8605d181d5b12d2e
	.section	.bss,"aw",@nobits
	.globl	__hip_cuid_8605d181d5b12d2e
__hip_cuid_8605d181d5b12d2e:
	.byte	0                               ; 0x0
	.size	__hip_cuid_8605d181d5b12d2e, 1

	.ident	"AMD clang version 19.0.0git (https://github.com/RadeonOpenCompute/llvm-project roc-6.4.0 25133 c7fe45cf4b819c5991fe208aaa96edf142730f1d)"
	.section	".note.GNU-stack","",@progbits
	.addrsig
	.addrsig_sym __hip_cuid_8605d181d5b12d2e
	.amdgpu_metadata
---
amdhsa.kernels:
  - .agpr_count:     0
    .args:
      - .actual_access:  read_only
        .address_space:  global
        .offset:         0
        .size:           8
        .value_kind:     global_buffer
      - .offset:         8
        .size:           8
        .value_kind:     by_value
      - .actual_access:  read_only
        .address_space:  global
        .offset:         16
        .size:           8
        .value_kind:     global_buffer
      - .actual_access:  read_only
        .address_space:  global
        .offset:         24
        .size:           8
        .value_kind:     global_buffer
      - .actual_access:  read_only
        .address_space:  global
        .offset:         32
        .size:           8
        .value_kind:     global_buffer
      - .offset:         40
        .size:           8
        .value_kind:     by_value
      - .actual_access:  read_only
        .address_space:  global
        .offset:         48
        .size:           8
        .value_kind:     global_buffer
      - .actual_access:  read_only
        .address_space:  global
        .offset:         56
        .size:           8
        .value_kind:     global_buffer
      - .offset:         64
        .size:           4
        .value_kind:     by_value
      - .actual_access:  read_only
        .address_space:  global
        .offset:         72
        .size:           8
        .value_kind:     global_buffer
      - .actual_access:  read_only
        .address_space:  global
        .offset:         80
        .size:           8
        .value_kind:     global_buffer
      - .actual_access:  read_only
        .address_space:  global
        .offset:         88
        .size:           8
        .value_kind:     global_buffer
      - .actual_access:  write_only
        .address_space:  global
        .offset:         96
        .size:           8
        .value_kind:     global_buffer
    .group_segment_fixed_size: 0
    .kernarg_segment_align: 8
    .kernarg_segment_size: 104
    .language:       OpenCL C
    .language_version:
      - 2
      - 0
    .max_flat_workgroup_size: 64
    .name:           fft_rtc_back_len13_factors_13_wgs_64_tpt_1_half_op_CI_CI_sbrr_dirReg
    .private_segment_fixed_size: 0
    .sgpr_count:     36
    .sgpr_spill_count: 0
    .symbol:         fft_rtc_back_len13_factors_13_wgs_64_tpt_1_half_op_CI_CI_sbrr_dirReg.kd
    .uniform_work_group_size: 1
    .uses_dynamic_stack: false
    .vgpr_count:     126
    .vgpr_spill_count: 0
    .wavefront_size: 64
amdhsa.target:   amdgcn-amd-amdhsa--gfx950
amdhsa.version:
  - 1
  - 2
...

	.end_amdgpu_metadata
